;; amdgpu-corpus repo=ROCm/rocFFT kind=compiled arch=gfx950 opt=O3
	.text
	.amdgcn_target "amdgcn-amd-amdhsa--gfx950"
	.amdhsa_code_object_version 6
	.protected	fft_rtc_back_len150_factors_10_5_3_wgs_60_tpt_5_halfLds_half_ip_CI_unitstride_sbrr_dirReg ; -- Begin function fft_rtc_back_len150_factors_10_5_3_wgs_60_tpt_5_halfLds_half_ip_CI_unitstride_sbrr_dirReg
	.globl	fft_rtc_back_len150_factors_10_5_3_wgs_60_tpt_5_halfLds_half_ip_CI_unitstride_sbrr_dirReg
	.p2align	8
	.type	fft_rtc_back_len150_factors_10_5_3_wgs_60_tpt_5_halfLds_half_ip_CI_unitstride_sbrr_dirReg,@function
fft_rtc_back_len150_factors_10_5_3_wgs_60_tpt_5_halfLds_half_ip_CI_unitstride_sbrr_dirReg: ; @fft_rtc_back_len150_factors_10_5_3_wgs_60_tpt_5_halfLds_half_ip_CI_unitstride_sbrr_dirReg
; %bb.0:
	s_load_dwordx2 s[8:9], s[0:1], 0x50
	s_load_dwordx4 s[4:7], s[0:1], 0x0
	s_load_dwordx2 s[10:11], s[0:1], 0x18
	v_mul_u32_u24_e32 v1, 0x3334, v0
	v_lshrrev_b32_e32 v2, 16, v1
	v_mad_u64_u32 v[2:3], s[2:3], s2, 12, v[2:3]
	v_mov_b32_e32 v6, 0
	v_mov_b32_e32 v3, v6
	s_waitcnt lgkmcnt(0)
	v_cmp_lt_u64_e64 s[2:3], s[6:7], 2
	s_and_b64 vcc, exec, s[2:3]
	v_mov_b64_e32 v[4:5], 0
	v_mov_b64_e32 v[10:11], v[2:3]
	s_cbranch_vccnz .LBB0_8
; %bb.1:
	s_load_dwordx2 s[2:3], s[0:1], 0x10
	s_add_u32 s12, s10, 8
	s_addc_u32 s13, s11, 0
	s_mov_b64 s[14:15], 1
	v_mov_b64_e32 v[4:5], 0
	s_waitcnt lgkmcnt(0)
	s_add_u32 s16, s2, 8
	s_addc_u32 s17, s3, 0
	v_mov_b64_e32 v[8:9], v[2:3]
.LBB0_2:                                ; =>This Inner Loop Header: Depth=1
	s_load_dwordx2 s[18:19], s[16:17], 0x0
                                        ; implicit-def: $vgpr10_vgpr11
	s_waitcnt lgkmcnt(0)
	v_or_b32_e32 v7, s19, v9
	v_cmp_ne_u64_e32 vcc, 0, v[6:7]
	s_and_saveexec_b64 s[2:3], vcc
	s_xor_b64 s[20:21], exec, s[2:3]
	s_cbranch_execz .LBB0_4
; %bb.3:                                ;   in Loop: Header=BB0_2 Depth=1
	v_cvt_f32_u32_e32 v1, s18
	v_cvt_f32_u32_e32 v3, s19
	s_sub_u32 s2, 0, s18
	s_subb_u32 s3, 0, s19
	v_fmac_f32_e32 v1, 0x4f800000, v3
	v_rcp_f32_e32 v1, v1
	s_nop 0
	v_mul_f32_e32 v1, 0x5f7ffffc, v1
	v_mul_f32_e32 v3, 0x2f800000, v1
	v_trunc_f32_e32 v3, v3
	v_fmac_f32_e32 v1, 0xcf800000, v3
	v_cvt_u32_f32_e32 v3, v3
	v_cvt_u32_f32_e32 v1, v1
	v_mul_lo_u32 v7, s2, v3
	v_mul_hi_u32 v10, s2, v1
	v_mul_lo_u32 v11, s3, v1
	v_add_u32_e32 v7, v10, v7
	v_mul_lo_u32 v14, s2, v1
	v_add_u32_e32 v7, v7, v11
	v_mul_hi_u32 v10, v1, v14
	v_mul_hi_u32 v13, v1, v7
	v_mul_lo_u32 v12, v1, v7
	v_mov_b32_e32 v11, v6
	v_lshl_add_u64 v[10:11], v[10:11], 0, v[12:13]
	v_mul_hi_u32 v13, v3, v14
	v_mul_lo_u32 v14, v3, v14
	v_add_co_u32_e32 v10, vcc, v10, v14
	v_mul_hi_u32 v12, v3, v7
	s_nop 0
	v_addc_co_u32_e32 v10, vcc, v11, v13, vcc
	v_mov_b32_e32 v11, v6
	s_nop 0
	v_addc_co_u32_e32 v13, vcc, 0, v12, vcc
	v_mul_lo_u32 v12, v3, v7
	v_lshl_add_u64 v[10:11], v[10:11], 0, v[12:13]
	v_add_co_u32_e32 v1, vcc, v1, v10
	v_mul_hi_u32 v10, s2, v1
	s_nop 0
	v_addc_co_u32_e32 v3, vcc, v3, v11, vcc
	v_mul_lo_u32 v7, s2, v3
	v_add_u32_e32 v7, v10, v7
	v_mul_lo_u32 v10, s3, v1
	v_add_u32_e32 v7, v7, v10
	v_mul_lo_u32 v12, s2, v1
	v_mul_hi_u32 v15, v3, v12
	v_mul_lo_u32 v16, v3, v12
	v_mul_hi_u32 v11, v1, v7
	;; [unrolled: 2-line block ×3, first 2 shown]
	v_mov_b32_e32 v13, v6
	v_lshl_add_u64 v[10:11], v[12:13], 0, v[10:11]
	v_add_co_u32_e32 v10, vcc, v10, v16
	v_mul_hi_u32 v14, v3, v7
	s_nop 0
	v_addc_co_u32_e32 v10, vcc, v11, v15, vcc
	v_mul_lo_u32 v12, v3, v7
	s_nop 0
	v_addc_co_u32_e32 v13, vcc, 0, v14, vcc
	v_mov_b32_e32 v11, v6
	v_lshl_add_u64 v[10:11], v[10:11], 0, v[12:13]
	v_add_co_u32_e32 v1, vcc, v1, v10
	v_mul_hi_u32 v12, v8, v1
	s_nop 0
	v_addc_co_u32_e32 v3, vcc, v3, v11, vcc
	v_mad_u64_u32 v[10:11], s[2:3], v8, v3, 0
	v_mov_b32_e32 v13, v6
	v_lshl_add_u64 v[10:11], v[12:13], 0, v[10:11]
	v_mad_u64_u32 v[14:15], s[2:3], v9, v1, 0
	v_add_co_u32_e32 v1, vcc, v10, v14
	v_mad_u64_u32 v[12:13], s[2:3], v9, v3, 0
	s_nop 0
	v_addc_co_u32_e32 v10, vcc, v11, v15, vcc
	v_mov_b32_e32 v11, v6
	s_nop 0
	v_addc_co_u32_e32 v13, vcc, 0, v13, vcc
	v_lshl_add_u64 v[10:11], v[10:11], 0, v[12:13]
	v_mul_lo_u32 v1, s19, v10
	v_mul_lo_u32 v3, s18, v11
	v_mad_u64_u32 v[12:13], s[2:3], s18, v10, 0
	v_add3_u32 v1, v13, v3, v1
	v_sub_u32_e32 v3, v9, v1
	v_mov_b32_e32 v7, s19
	v_sub_co_u32_e32 v16, vcc, v8, v12
	v_lshl_add_u64 v[14:15], v[10:11], 0, 1
	s_nop 0
	v_subb_co_u32_e64 v3, s[2:3], v3, v7, vcc
	v_subrev_co_u32_e64 v7, s[2:3], s18, v16
	v_subb_co_u32_e32 v1, vcc, v9, v1, vcc
	s_nop 0
	v_subbrev_co_u32_e64 v3, s[2:3], 0, v3, s[2:3]
	v_cmp_le_u32_e64 s[2:3], s19, v3
	v_cmp_le_u32_e32 vcc, s19, v1
	s_nop 0
	v_cndmask_b32_e64 v12, 0, -1, s[2:3]
	v_cmp_le_u32_e64 s[2:3], s18, v7
	s_nop 1
	v_cndmask_b32_e64 v7, 0, -1, s[2:3]
	v_cmp_eq_u32_e64 s[2:3], s19, v3
	s_nop 1
	v_cndmask_b32_e64 v3, v12, v7, s[2:3]
	v_lshl_add_u64 v[12:13], v[10:11], 0, 2
	v_cmp_ne_u32_e64 s[2:3], 0, v3
	v_cndmask_b32_e64 v7, 0, -1, vcc
	v_cmp_le_u32_e32 vcc, s18, v16
	v_cndmask_b32_e64 v3, v15, v13, s[2:3]
	s_nop 0
	v_cndmask_b32_e64 v13, 0, -1, vcc
	v_cmp_eq_u32_e32 vcc, s19, v1
	s_nop 1
	v_cndmask_b32_e32 v1, v7, v13, vcc
	v_cmp_ne_u32_e32 vcc, 0, v1
	v_cndmask_b32_e64 v1, v14, v12, s[2:3]
	s_nop 0
	v_cndmask_b32_e32 v11, v11, v3, vcc
	v_cndmask_b32_e32 v10, v10, v1, vcc
.LBB0_4:                                ;   in Loop: Header=BB0_2 Depth=1
	s_andn2_saveexec_b64 s[2:3], s[20:21]
	s_cbranch_execz .LBB0_6
; %bb.5:                                ;   in Loop: Header=BB0_2 Depth=1
	v_cvt_f32_u32_e32 v1, s18
	s_sub_i32 s20, 0, s18
	v_mov_b32_e32 v11, v6
	v_rcp_iflag_f32_e32 v1, v1
	s_nop 0
	v_mul_f32_e32 v1, 0x4f7ffffe, v1
	v_cvt_u32_f32_e32 v1, v1
	v_mul_lo_u32 v3, s20, v1
	v_mul_hi_u32 v3, v1, v3
	v_add_u32_e32 v1, v1, v3
	v_mul_hi_u32 v1, v8, v1
	v_mul_lo_u32 v3, v1, s18
	v_sub_u32_e32 v3, v8, v3
	v_add_u32_e32 v7, 1, v1
	v_subrev_u32_e32 v10, s18, v3
	v_cmp_le_u32_e32 vcc, s18, v3
	s_nop 1
	v_cndmask_b32_e32 v3, v3, v10, vcc
	v_cndmask_b32_e32 v1, v1, v7, vcc
	v_add_u32_e32 v7, 1, v1
	v_cmp_le_u32_e32 vcc, s18, v3
	s_nop 1
	v_cndmask_b32_e32 v10, v1, v7, vcc
.LBB0_6:                                ;   in Loop: Header=BB0_2 Depth=1
	s_or_b64 exec, exec, s[2:3]
	v_mad_u64_u32 v[12:13], s[2:3], v10, s18, 0
	s_load_dwordx2 s[2:3], s[12:13], 0x0
	s_add_u32 s14, s14, 1
	v_mul_lo_u32 v1, v11, s18
	v_mul_lo_u32 v3, v10, s19
	s_addc_u32 s15, s15, 0
	v_add3_u32 v1, v13, v3, v1
	v_sub_co_u32_e32 v3, vcc, v8, v12
	s_add_u32 s12, s12, 8
	s_nop 0
	v_subb_co_u32_e32 v1, vcc, v9, v1, vcc
	s_addc_u32 s13, s13, 0
	v_mov_b64_e32 v[8:9], s[6:7]
	s_waitcnt lgkmcnt(0)
	v_mul_lo_u32 v1, s2, v1
	v_mul_lo_u32 v7, s3, v3
	v_mad_u64_u32 v[4:5], s[2:3], s2, v3, v[4:5]
	s_add_u32 s16, s16, 8
	v_cmp_ge_u64_e32 vcc, s[14:15], v[8:9]
	v_add3_u32 v5, v7, v5, v1
	s_addc_u32 s17, s17, 0
	s_cbranch_vccnz .LBB0_8
; %bb.7:                                ;   in Loop: Header=BB0_2 Depth=1
	v_mov_b64_e32 v[8:9], v[10:11]
	s_branch .LBB0_2
.LBB0_8:
	s_lshl_b64 s[2:3], s[6:7], 3
	s_add_u32 s2, s10, s2
	s_addc_u32 s3, s11, s3
	s_load_dwordx2 s[6:7], s[2:3], 0x0
	s_load_dwordx2 s[10:11], s[0:1], 0x20
	s_mov_b32 s2, 0x33333334
                                        ; implicit-def: $vgpr9
	s_waitcnt lgkmcnt(0)
	v_mul_lo_u32 v1, s6, v11
	v_mul_lo_u32 v3, s7, v10
	v_mad_u64_u32 v[4:5], s[0:1], s6, v10, v[4:5]
	v_add3_u32 v5, v3, v5, v1
	v_mul_hi_u32 v1, v0, s2
	v_mul_u32_u24_e32 v1, 5, v1
	v_sub_u32_e32 v8, v0, v1
	v_cmp_gt_u64_e32 vcc, s[10:11], v[10:11]
	v_cmp_le_u64_e64 s[0:1], s[10:11], v[10:11]
	v_or_b32_e32 v13, 40, v8
	s_and_saveexec_b64 s[2:3], s[0:1]
	s_xor_b64 s[0:1], exec, s[2:3]
; %bb.9:
	v_or_b32_e32 v13, 40, v8
	v_or_b32_e32 v9, 0x50, v8
; %bb.10:
	s_or_saveexec_b64 s[0:1], s[0:1]
	v_lshl_add_u64 v[10:11], v[4:5], 2, s[8:9]
                                        ; implicit-def: $vgpr4
                                        ; implicit-def: $vgpr54
                                        ; implicit-def: $vgpr21
                                        ; implicit-def: $vgpr5
                                        ; implicit-def: $vgpr6
                                        ; implicit-def: $vgpr52
                                        ; implicit-def: $vgpr23
                                        ; implicit-def: $vgpr3
                                        ; implicit-def: $vgpr7
                                        ; implicit-def: $vgpr53
                                        ; implicit-def: $vgpr25
                                        ; implicit-def: $vgpr0
                                        ; implicit-def: $vgpr14
                                        ; implicit-def: $vgpr51
                                        ; implicit-def: $vgpr26
                                        ; implicit-def: $vgpr1
                                        ; implicit-def: $vgpr19
                                        ; implicit-def: $vgpr48
                                        ; implicit-def: $vgpr28
                                        ; implicit-def: $vgpr36
                                        ; implicit-def: $vgpr29
                                        ; implicit-def: $vgpr60
                                        ; implicit-def: $vgpr34
                                        ; implicit-def: $vgpr27
                                        ; implicit-def: $vgpr30
                                        ; implicit-def: $vgpr59
                                        ; implicit-def: $vgpr35
                                        ; implicit-def: $vgpr24
                                        ; implicit-def: $vgpr31
                                        ; implicit-def: $vgpr58
                                        ; implicit-def: $vgpr37
                                        ; implicit-def: $vgpr22
                                        ; implicit-def: $vgpr32
                                        ; implicit-def: $vgpr56
                                        ; implicit-def: $vgpr38
                                        ; implicit-def: $vgpr15
                                        ; implicit-def: $vgpr33
                                        ; implicit-def: $vgpr57
                                        ; implicit-def: $vgpr39
                                        ; implicit-def: $vgpr55
                                        ; implicit-def: $vgpr40
                                        ; implicit-def: $vgpr67
                                        ; implicit-def: $vgpr45
                                        ; implicit-def: $vgpr20
                                        ; implicit-def: $vgpr41
                                        ; implicit-def: $vgpr66
                                        ; implicit-def: $vgpr46
                                        ; implicit-def: $vgpr17
                                        ; implicit-def: $vgpr42
                                        ; implicit-def: $vgpr63
                                        ; implicit-def: $vgpr47
                                        ; implicit-def: $vgpr16
                                        ; implicit-def: $vgpr43
                                        ; implicit-def: $vgpr62
                                        ; implicit-def: $vgpr49
                                        ; implicit-def: $vgpr12
                                        ; implicit-def: $vgpr44
                                        ; implicit-def: $vgpr65
                                        ; implicit-def: $vgpr50
                                        ; implicit-def: $vgpr18
	s_xor_b64 exec, exec, s[0:1]
	s_cbranch_execz .LBB0_12
; %bb.11:
	v_mov_b32_e32 v9, 0
	v_lshl_add_u64 v[6:7], v[8:9], 2, v[10:11]
	global_load_dword v65, v[6:7], off offset:60
	global_load_dword v12, v[6:7], off offset:120
	global_load_dword v18, v[6:7], off
	global_load_dword v62, v[6:7], off offset:180
	global_load_dword v16, v[6:7], off offset:240
	;; [unrolled: 1-line block ×27, first 2 shown]
	v_or_b32_e32 v9, 0x50, v8
	s_waitcnt vmcnt(29)
	v_lshrrev_b32_e32 v44, 16, v65
	s_waitcnt vmcnt(28)
	v_lshrrev_b32_e32 v49, 16, v12
	;; [unrolled: 2-line block ×30, first 2 shown]
.LBB0_12:
	s_or_b64 exec, exec, s[0:1]
	s_mov_b32 s0, 0xaaaaaaab
	v_mul_hi_u32 v61, v2, s0
	v_lshrrev_b32_e32 v61, 3, v61
	v_mul_lo_u32 v61, v61, 12
	v_sub_u32_e32 v68, v2, v61
	v_sub_f16_e32 v2, v12, v16
	v_sub_f16_e32 v61, v20, v17
	v_add_f16_e32 v69, v61, v2
	v_sub_f16_e32 v2, v16, v12
	v_sub_f16_e32 v61, v17, v20
	v_add_f16_e32 v2, v61, v2
	v_add_f16_e32 v61, v20, v12
	s_mov_b32 s1, 0xbb9c
	s_movk_i32 s3, 0x3b9c
	v_fma_f16 v61, v61, -0.5, v18
	v_sub_f16_e32 v71, v47, v46
	s_mov_b32 s0, 0xb8b4
	s_movk_i32 s6, 0x38b4
	v_sub_f16_e32 v70, v49, v45
	v_fma_f16 v64, v71, s3, v61
	v_fma_f16 v61, v71, s1, v61
	s_movk_i32 s2, 0x34f2
	v_fma_f16 v64, v70, s0, v64
	v_fma_f16 v61, v70, s6, v61
	;; [unrolled: 1-line block ×4, first 2 shown]
	v_sub_f16_e32 v2, v62, v63
	v_sub_f16_e32 v61, v67, v66
	v_add_f16_e32 v73, v61, v2
	v_sub_f16_e32 v2, v63, v62
	v_sub_f16_e32 v61, v66, v67
	v_add_f16_e32 v61, v61, v2
	v_add_f16_e32 v2, v67, v62
	v_fma_f16 v74, v2, -0.5, v65
	v_sub_f16_e32 v76, v42, v41
	v_sub_f16_e32 v75, v43, v40
	v_fma_f16 v2, v76, s3, v74
	v_fma_f16 v74, v76, s1, v74
	v_fma_f16 v2, v75, s0, v2
	v_fma_f16 v74, v75, s6, v74
	v_fma_f16 v2, v61, s2, v2
	v_fma_f16 v61, v61, s2, v74
	v_add_f16_e32 v74, v66, v63
	v_fma_f16 v74, v74, -0.5, v65
	v_add_f16_e32 v65, v62, v65
	v_add_f16_e32 v65, v63, v65
	;; [unrolled: 1-line block ×4, first 2 shown]
	v_sub_f16_e32 v67, v62, v67
	v_sub_f16_e32 v66, v63, v66
	;; [unrolled: 1-line block ×4, first 2 shown]
	v_add_f16_e32 v77, v63, v62
	v_sub_f16_e32 v62, v42, v43
	v_sub_f16_e32 v63, v41, v40
	v_add_f16_e32 v63, v63, v62
	v_add_f16_e32 v62, v40, v43
	v_fma_f16 v78, v62, -0.5, v44
	v_fma_f16 v62, v66, s1, v78
	v_fma_f16 v78, v66, s3, v78
	;; [unrolled: 1-line block ×6, first 2 shown]
	v_mul_f16_e32 v78, 0xbb9c, v62
	s_mov_b32 s7, 0xb4f2
	v_mul_f16_e32 v79, 0xbb9c, v63
	v_fma_f16 v78, v2, s2, v78
	v_fma_f16 v79, v61, s7, v79
	v_add_f16_e32 v80, v72, v78
	v_add_f16_e32 v81, v64, v79
	v_pack_b32_f16 v80, v80, v81
	v_add_f16_e32 v81, v17, v16
	v_fma_f16 v81, v81, -0.5, v18
	v_add_f16_e32 v18, v12, v18
	v_add_f16_e32 v18, v16, v18
	;; [unrolled: 1-line block ×4, first 2 shown]
	v_fma_f16 v18, v70, s1, v81
	v_fma_f16 v18, v71, s0, v18
	;; [unrolled: 1-line block ×6, first 2 shown]
	v_add_f16_e32 v18, v41, v42
	v_fma_f16 v85, v18, -0.5, v44
	v_fma_f16 v18, v67, s3, v85
	v_fma_f16 v18, v66, s6, v18
	;; [unrolled: 1-line block ×4, first 2 shown]
	s_movk_i32 s8, 0x3a79
	v_mul_f16_e32 v18, 0xb8b4, v86
	v_fma_f16 v70, v71, s6, v70
	v_fma_f16 v67, v67, s1, v85
	;; [unrolled: 1-line block ×6, first 2 shown]
	v_add_f16_e32 v18, v65, v82
	v_add_f16_e32 v88, v83, v87
	v_fma_f16 v70, v76, s6, v70
	v_fma_f16 v71, v77, s2, v66
	v_sub_f16_e32 v66, v83, v87
	v_sub_f16_e32 v67, v72, v78
	v_pack_b32_f16 v88, v18, v88
	v_mul_u32_u24_e32 v18, 0x96, v68
	v_fma_f16 v70, v73, s2, v70
	v_pack_b32_f16 v66, v66, v67
	s_mov_b32 s9, 0xba79
	v_mul_f16_e32 v67, 0xb8b4, v71
	v_lshlrev_b32_e32 v68, 1, v18
	v_fma_f16 v67, v70, s9, v67
	v_mul_u32_u24_e32 v89, 10, v8
	v_add_u32_e32 v18, 0, v68
	v_sub_f16_e32 v65, v82, v65
	v_add_f16_e32 v72, v69, v67
	v_lshl_add_u32 v89, v89, 1, v18
	v_pack_b32_f16 v65, v72, v65
	ds_write2_b32 v89, v65, v66 offset0:2 offset1:3
	v_sub_f16_e32 v65, v15, v22
	v_sub_f16_e32 v66, v27, v24
	v_add_f16_e32 v65, v66, v65
	v_sub_f16_e32 v66, v22, v15
	v_sub_f16_e32 v72, v24, v27
	v_add_f16_e32 v66, v72, v66
	v_add_f16_e32 v72, v27, v15
	v_fma_f16 v72, v72, -0.5, v55
	v_sub_f16_e32 v74, v37, v35
	v_sub_f16_e32 v73, v38, v34
	v_fma_f16 v75, v74, s3, v72
	v_fma_f16 v72, v74, s1, v72
	;; [unrolled: 1-line block ×6, first 2 shown]
	v_sub_f16_e32 v72, v56, v58
	v_sub_f16_e32 v76, v60, v59
	v_add_f16_e32 v72, v76, v72
	v_sub_f16_e32 v76, v58, v56
	v_sub_f16_e32 v77, v59, v60
	v_add_f16_e32 v76, v77, v76
	v_add_f16_e32 v77, v60, v56
	ds_write2_b32 v89, v88, v80 offset1:1
	v_fma_f16 v77, v77, -0.5, v57
	v_sub_f16_e32 v80, v31, v30
	v_sub_f16_e32 v78, v32, v29
	v_fma_f16 v81, v80, s3, v77
	v_fma_f16 v77, v80, s1, v77
	;; [unrolled: 1-line block ×6, first 2 shown]
	v_add_f16_e32 v77, v59, v58
	v_fma_f16 v77, v77, -0.5, v57
	v_add_f16_e32 v57, v56, v57
	v_add_f16_e32 v57, v58, v57
	;; [unrolled: 1-line block ×4, first 2 shown]
	v_sub_f16_e32 v56, v56, v60
	v_sub_f16_e32 v58, v58, v59
	;; [unrolled: 1-line block ×4, first 2 shown]
	v_add_f16_e32 v59, v60, v59
	v_sub_f16_e32 v60, v31, v32
	v_sub_f16_e32 v82, v30, v29
	v_add_f16_e32 v60, v82, v60
	v_add_f16_e32 v82, v29, v32
	v_fma_f16 v82, v82, -0.5, v33
	v_fma_f16 v83, v58, s1, v82
	v_fma_f16 v82, v58, s3, v82
	;; [unrolled: 1-line block ×6, first 2 shown]
	v_mul_f16_e32 v60, 0xbb9c, v83
	v_mul_f16_e32 v85, 0xbb9c, v82
	v_fma_f16 v60, v81, s2, v60
	v_fma_f16 v85, v76, s7, v85
	v_add_f16_e32 v87, v75, v60
	v_add_f16_e32 v88, v66, v85
	;; [unrolled: 1-line block ×3, first 2 shown]
	v_pack_b32_f16 v87, v87, v88
	v_add_f16_e32 v88, v24, v22
	v_fma_f16 v92, v92, -0.5, v33
	v_fma_f16 v88, v88, -0.5, v55
	v_fma_f16 v93, v56, s3, v92
	v_add_f16_e32 v55, v15, v55
	v_fma_f16 v90, v73, s1, v88
	v_fma_f16 v91, v78, s1, v77
	;; [unrolled: 1-line block ×4, first 2 shown]
	v_add_f16_e32 v55, v22, v55
	v_fma_f16 v90, v74, s0, v90
	v_fma_f16 v91, v80, s0, v91
	;; [unrolled: 1-line block ×4, first 2 shown]
	v_add_f16_e32 v55, v24, v55
	v_fma_f16 v90, v65, s2, v90
	v_fma_f16 v91, v72, s2, v91
	v_mul_f16_e32 v94, 0xb8b4, v93
	v_fma_f16 v65, v65, s2, v73
	v_fma_f16 v73, v78, s3, v77
	v_fma_f16 v56, v56, s1, v92
	v_add_f16_e32 v55, v27, v55
	v_fma_f16 v94, v91, s8, v94
	v_fma_f16 v73, v80, s6, v73
	;; [unrolled: 1-line block ×3, first 2 shown]
	v_add_f16_e32 v95, v57, v55
	v_fma_f16 v72, v72, s2, v73
	v_fma_f16 v73, v59, s2, v56
	v_sub_f16_e32 v55, v55, v57
	v_sub_f16_e32 v56, v90, v94
	;; [unrolled: 1-line block ×3, first 2 shown]
	v_pack_b32_f16 v56, v56, v57
	v_mul_f16_e32 v57, 0xb8b4, v73
	v_fma_f16 v57, v72, s9, v57
	v_add_f16_e32 v58, v65, v57
	v_pack_b32_f16 v55, v58, v55
	ds_write2_b32 v89, v55, v56 offset0:27 offset1:28
	v_sub_f16_e32 v55, v64, v79
	v_sub_f16_e32 v56, v69, v67
	;; [unrolled: 1-line block ×4, first 2 shown]
	v_pack_b32_f16 v55, v55, v56
	v_pack_b32_f16 v56, v58, v57
	ds_write2_b32 v89, v55, v56 offset0:4 offset1:29
	v_sub_f16_e32 v55, v1, v0
	v_sub_f16_e32 v56, v5, v3
	v_add_f16_e32 v55, v56, v55
	v_sub_f16_e32 v56, v0, v1
	v_sub_f16_e32 v57, v3, v5
	v_add_f16_e32 v56, v57, v56
	v_add_f16_e32 v57, v5, v1
	v_fma_f16 v57, v57, -0.5, v36
	v_sub_f16_e32 v59, v25, v23
	v_sub_f16_e32 v58, v26, v21
	v_fma_f16 v60, v59, s3, v57
	v_fma_f16 v57, v59, s1, v57
	;; [unrolled: 1-line block ×6, first 2 shown]
	v_sub_f16_e32 v57, v51, v53
	v_sub_f16_e32 v64, v54, v52
	v_add_f16_e32 v57, v64, v57
	v_sub_f16_e32 v64, v53, v51
	v_sub_f16_e32 v65, v52, v54
	v_add_f16_e32 v64, v65, v64
	v_add_f16_e32 v65, v54, v51
	v_fma_f16 v65, v65, -0.5, v48
	v_sub_f16_e32 v67, v7, v6
	v_sub_f16_e32 v66, v14, v4
	v_fma_f16 v69, v67, s3, v65
	v_fma_f16 v65, v67, s1, v65
	;; [unrolled: 1-line block ×6, first 2 shown]
	v_add_f16_e32 v64, v52, v53
	v_fma_f16 v64, v64, -0.5, v48
	v_add_f16_e32 v48, v51, v48
	v_add_f16_e32 v48, v53, v48
	;; [unrolled: 1-line block ×4, first 2 shown]
	v_sub_f16_e32 v51, v51, v54
	v_sub_f16_e32 v52, v53, v52
	;; [unrolled: 1-line block ×4, first 2 shown]
	v_add_f16_e32 v53, v54, v53
	v_sub_f16_e32 v54, v7, v14
	v_sub_f16_e32 v65, v6, v4
	v_add_f16_e32 v54, v65, v54
	v_add_f16_e32 v65, v4, v14
	v_fma_f16 v65, v65, -0.5, v19
	v_fma_f16 v75, v52, s1, v65
	v_fma_f16 v65, v52, s3, v65
	;; [unrolled: 1-line block ×4, first 2 shown]
	v_add_f16_e32 v96, v90, v94
	v_fma_f16 v75, v54, s2, v75
	v_fma_f16 v77, v54, s2, v65
	v_pack_b32_f16 v95, v95, v96
	v_mul_f16_e32 v54, 0xbb9c, v75
	v_mul_f16_e32 v65, 0xbb9c, v77
	ds_write2_b32 v89, v95, v87 offset0:25 offset1:26
	v_fma_f16 v54, v69, s2, v54
	v_fma_f16 v65, v74, s7, v65
	v_add_f16_e32 v87, v6, v7
	v_add_f16_e32 v78, v60, v54
	;; [unrolled: 1-line block ×3, first 2 shown]
	v_fma_f16 v87, v87, -0.5, v19
	v_pack_b32_f16 v78, v78, v79
	v_add_f16_e32 v79, v3, v0
	v_fma_f16 v88, v51, s3, v87
	v_fma_f16 v79, v79, -0.5, v36
	v_add_f16_e32 v36, v1, v36
	v_fma_f16 v85, v66, s1, v64
	v_fma_f16 v88, v52, s6, v88
	v_add_f16_e32 v36, v0, v36
	v_fma_f16 v80, v58, s1, v79
	v_fma_f16 v85, v67, s0, v85
	;; [unrolled: 1-line block ×3, first 2 shown]
	v_add_f16_e32 v36, v3, v36
	v_fma_f16 v80, v59, s0, v80
	v_fma_f16 v85, v57, s2, v85
	v_mul_f16_e32 v90, 0xb8b4, v88
	v_add_f16_e32 v36, v5, v36
	v_fma_f16 v80, v55, s2, v80
	v_fma_f16 v90, v85, s8, v90
	v_add_f16_e32 v92, v48, v36
	v_add_f16_e32 v94, v80, v90
	v_fma_f16 v51, v51, s1, v87
	v_sub_f16_e32 v36, v36, v48
	v_sub_f16_e32 v48, v80, v90
	;; [unrolled: 1-line block ×6, first 2 shown]
	v_add_f16_e32 v90, v16, v12
	v_add_f16_e32 v16, v49, v50
	v_pack_b32_f16 v92, v92, v94
	v_add_f16_e32 v12, v46, v47
	v_add_f16_e32 v16, v47, v16
	ds_write2_b32 v89, v92, v78 offset0:50 offset1:51
	v_fma_f16 v92, v12, -0.5, v50
	v_add_f16_e32 v12, v45, v49
	v_add_f16_e32 v16, v46, v16
	v_fma_f16 v12, v12, -0.5, v50
	v_sub_f16_e32 v17, v47, v49
	v_add_f16_e32 v94, v45, v16
	v_sub_f16_e32 v16, v46, v45
	v_add_f16_e32 v16, v16, v17
	v_fma_f16 v17, v87, s1, v12
	v_fma_f16 v12, v87, s3, v12
	;; [unrolled: 1-line block ×8, first 2 shown]
	v_sub_f16_e32 v15, v15, v27
	v_sub_f16_e32 v22, v22, v24
	;; [unrolled: 1-line block ×4, first 2 shown]
	v_fma_f16 v80, v87, s0, v80
	v_mul_f16_e32 v71, 0xba79, v71
	v_add_f16_e32 v24, v27, v24
	v_add_f16_e32 v27, v35, v37
	v_fma_f16 v80, v90, s2, v80
	v_fma_f16 v70, v70, s6, v71
	v_fma_f16 v27, v27, -0.5, v39
	v_fma_f16 v16, v87, s6, v16
	v_add_f16_e32 v87, v80, v70
	v_sub_f16_e32 v70, v80, v70
	v_fma_f16 v80, v15, s3, v27
	v_fma_f16 v27, v15, s1, v27
	;; [unrolled: 1-line block ×6, first 2 shown]
	v_add_f16_e32 v27, v34, v38
	v_fma_f16 v27, v27, -0.5, v39
	v_add_f16_e32 v39, v38, v39
	v_add_f16_e32 v39, v37, v39
	v_sub_f16_e32 v37, v37, v38
	v_add_f16_e32 v38, v35, v39
	v_add_f16_e32 v38, v34, v38
	v_sub_f16_e32 v34, v35, v34
	v_fma_f16 v35, v22, s1, v27
	v_add_f16_e32 v34, v34, v37
	v_fma_f16 v22, v22, s3, v27
	v_fma_f16 v27, v15, s6, v35
	;; [unrolled: 1-line block ×4, first 2 shown]
	v_add_f16_e32 v27, v32, v33
	v_add_f16_e32 v27, v31, v27
	v_sub_f16_e32 v1, v1, v5
	v_sub_f16_e32 v0, v0, v3
	;; [unrolled: 1-line block ×4, first 2 shown]
	v_add_f16_e32 v27, v30, v27
	v_mul_f16_e32 v30, 0x3b9c, v81
	v_mul_f16_e32 v31, 0xb4f2, v82
	;; [unrolled: 1-line block ×3, first 2 shown]
	v_add_f16_e32 v3, v5, v3
	v_add_f16_e32 v5, v23, v25
	v_fma_f16 v15, v34, s2, v15
	v_fma_f16 v30, v83, s2, v30
	;; [unrolled: 1-line block ×4, first 2 shown]
	v_fma_f16 v5, v5, -0.5, v28
	v_add_f16_e32 v35, v22, v30
	v_sub_f16_e32 v22, v22, v30
	v_add_f16_e32 v30, v15, v31
	v_sub_f16_e32 v15, v15, v31
	;; [unrolled: 2-line block ×3, first 2 shown]
	v_fma_f16 v32, v1, s3, v5
	v_fma_f16 v5, v1, s1, v5
	;; [unrolled: 1-line block ×6, first 2 shown]
	v_add_f16_e32 v12, v43, v44
	v_fma_f16 v32, v3, s2, v32
	v_fma_f16 v3, v3, s2, v5
	v_add_f16_e32 v5, v21, v26
	v_fma_f16 v55, v55, s2, v58
	v_fma_f16 v58, v66, s3, v64
	;; [unrolled: 1-line block ×3, first 2 shown]
	v_add_f16_e32 v12, v42, v12
	v_fma_f16 v5, v5, -0.5, v28
	v_add_f16_e32 v28, v26, v28
	v_fma_f16 v58, v67, s6, v58
	v_fma_f16 v79, v53, s2, v51
	v_sub_f16_e32 v51, v60, v54
	v_add_f16_e32 v12, v41, v12
	v_add_f16_e32 v28, v25, v28
	v_fma_f16 v78, v57, s2, v58
	v_pack_b32_f16 v48, v48, v51
	v_mul_f16_e32 v51, 0xb8b4, v79
	v_add_f16_e32 v97, v40, v12
	v_mul_f16_e32 v12, 0x38b4, v84
	v_sub_f16_e32 v25, v25, v26
	v_add_f16_e32 v26, v23, v28
	v_fma_f16 v51, v78, s9, v51
	v_fma_f16 v84, v86, s8, v12
	v_mul_f16_e32 v12, 0xb4f2, v63
	v_add_f16_e32 v26, v21, v26
	v_sub_f16_e32 v21, v23, v21
	v_fma_f16 v23, v0, s1, v5
	v_mul_f16_e32 v2, 0x3b9c, v2
	v_fma_f16 v86, v61, s3, v12
	v_sub_f16_e32 v12, v56, v65
	v_fma_f16 v98, v90, s2, v16
	v_sub_f16_e32 v16, v55, v51
	v_add_f16_e32 v21, v21, v25
	v_fma_f16 v0, v0, s3, v5
	v_fma_f16 v5, v1, s6, v23
	v_fma_f16 v2, v62, s2, v2
	v_pack_b32_f16 v12, v12, v16
	v_fma_f16 v0, v1, s0, v0
	v_fma_f16 v1, v21, s2, v5
	v_add_f16_e32 v5, v14, v19
	v_add_f16_e32 v16, v95, v2
	ds_write_b32 v89, v12 offset:216
	v_add_f16_e32 v12, v96, v86
	v_add_f16_e32 v5, v7, v5
	;; [unrolled: 1-line block ×3, first 2 shown]
	v_pack_b32_f16 v99, v16, v12
	v_add_f16_e32 v12, v98, v84
	v_add_f16_e32 v27, v29, v27
	v_mul_f16_e32 v29, 0x38b4, v91
	v_add_f16_e32 v5, v6, v5
	v_mul_f16_e32 v6, 0x3b9c, v69
	v_mul_f16_e32 v7, 0xb4f2, v77
	;; [unrolled: 1-line block ×3, first 2 shown]
	v_add_f16_e32 v52, v55, v51
	v_pack_b32_f16 v100, v17, v12
	v_lshlrev_b32_e32 v12, 1, v8
	v_sub_f16_e32 v71, v94, v97
	v_sub_f16_e32 v84, v98, v84
	;; [unrolled: 1-line block ×3, first 2 shown]
	v_fma_f16 v29, v93, s8, v29
	v_fma_f16 v0, v21, s2, v0
	;; [unrolled: 1-line block ×5, first 2 shown]
	v_pack_b32_f16 v36, v52, v36
	v_add3_u32 v17, 0, v12, v68
	v_add_u32_e32 v16, v18, v12
	v_add_f16_e32 v33, v27, v38
	v_add_f16_e32 v34, v80, v29
	;; [unrolled: 1-line block ×3, first 2 shown]
	v_sub_f16_e32 v1, v1, v6
	v_add_f16_e32 v6, v0, v7
	v_sub_f16_e32 v0, v0, v7
	v_add_f16_e32 v7, v3, v14
	v_sub_f16_e32 v3, v3, v14
	v_pack_b32_f16 v2, v84, v2
	v_pack_b32_f16 v14, v87, v71
	ds_write2_b32 v89, v36, v48 offset0:52 offset1:53
	s_waitcnt lgkmcnt(0)
	; wave barrier
	s_waitcnt lgkmcnt(0)
	ds_read_u16 v44, v16
	ds_read_u16 v43, v17 offset:10
	ds_read_u16 v42, v17 offset:20
	;; [unrolled: 1-line block ×7, first 2 shown]
	v_lshl_add_u32 v20, v13, 1, v18
	ds_read_u16 v53, v17 offset:90
	ds_read_u16 v48, v17 offset:100
	;; [unrolled: 1-line block ×20, first 2 shown]
	ds_read_u16 v65, v20
	ds_read_u16 v46, v17 offset:290
	s_waitcnt lgkmcnt(0)
	; wave barrier
	s_waitcnt lgkmcnt(0)
	v_sub_f16_e32 v27, v38, v27
	v_sub_f16_e32 v29, v80, v29
	v_add_f16_e32 v4, v4, v5
	v_mul_f16_e32 v5, 0x38b4, v85
	ds_write2_b32 v89, v14, v2 offset0:2 offset1:3
	v_pack_b32_f16 v14, v35, v30
	v_pack_b32_f16 v25, v33, v34
	v_sub_f16_e32 v86, v96, v86
	v_fma_f16 v5, v88, s8, v5
	ds_write2_b32 v89, v25, v14 offset0:25 offset1:26
	v_pack_b32_f16 v14, v29, v22
	v_pack_b32_f16 v22, v31, v27
	v_add_f16_e32 v19, v4, v26
	v_add_f16_e32 v21, v32, v5
	v_pack_b32_f16 v2, v86, v70
	ds_write2_b32 v89, v22, v14 offset0:27 offset1:28
	v_pack_b32_f16 v14, v15, v24
	v_sub_f16_e32 v4, v26, v4
	v_sub_f16_e32 v5, v32, v5
	ds_write2_b32 v89, v2, v14 offset0:4 offset1:29
	v_pack_b32_f16 v2, v23, v6
	v_pack_b32_f16 v6, v19, v21
	ds_write2_b32 v89, v6, v2 offset0:50 offset1:51
	v_pack_b32_f16 v1, v5, v1
	v_pack_b32_f16 v2, v7, v4
	;; [unrolled: 1-line block ×3, first 2 shown]
	v_lshlrev_b32_e32 v14, 2, v8
	v_mov_b32_e32 v15, 0
	ds_write2_b32 v89, v2, v1 offset0:52 offset1:53
	ds_write_b32 v89, v0 offset:216
	v_lshl_add_u64 v[0:1], v[14:15], 2, s[4:5]
	ds_write2_b32 v89, v100, v99 offset1:1
	s_waitcnt lgkmcnt(0)
	; wave barrier
	s_waitcnt lgkmcnt(0)
	global_load_dwordx4 v[4:7], v[0:1], off
	v_add_u32_e32 v19, 5, v8
	v_lshlrev_b32_e32 v14, 2, v19
	v_lshl_add_u64 v[0:1], v[14:15], 2, s[4:5]
	global_load_dwordx4 v[0:3], v[0:1], off
	v_add_u32_e32 v22, 20, v8
	s_movk_i32 s7, 0xcd
	v_mul_lo_u16_sdwa v14, v22, s7 dst_sel:DWORD dst_unused:UNUSED_PAD src0_sel:BYTE_0 src1_sel:DWORD
	v_lshrrev_b16_e32 v14, 11, v14
	v_mul_lo_u16_e32 v14, 10, v14
	ds_read_u16 v21, v17 offset:60
	ds_read_u16 v25, v17 offset:70
	;; [unrolled: 1-line block ×16, first 2 shown]
	ds_read_u16 v77, v16
	ds_read_u16 v78, v17 offset:10
	ds_read_u16 v79, v17 offset:20
	;; [unrolled: 1-line block ×5, first 2 shown]
	v_sub_u16_e32 v14, v22, v14
	v_and_b32_e32 v14, 0xff, v14
	v_lshlrev_b32_e32 v26, 4, v14
	global_load_dwordx4 v[26:29], v26, s[4:5]
	ds_read_u16 v85, v20
	s_waitcnt vmcnt(2) lgkmcnt(14)
	v_mul_f16_sdwa v30, v21, v4 dst_sel:DWORD dst_unused:UNUSED_PAD src0_sel:DWORD src1_sel:WORD_1
	v_fma_f16 v82, v66, v4, v30
	v_mul_f16_sdwa v30, v66, v4 dst_sel:DWORD dst_unused:UNUSED_PAD src0_sel:DWORD src1_sel:WORD_1
	v_fma_f16 v66, v21, v4, -v30
	s_waitcnt lgkmcnt(13)
	v_mul_f16_sdwa v21, v23, v5 dst_sel:DWORD dst_unused:UNUSED_PAD src0_sel:DWORD src1_sel:WORD_1
	v_fma_f16 v83, v68, v5, v21
	v_mul_f16_sdwa v21, v68, v5 dst_sel:DWORD dst_unused:UNUSED_PAD src0_sel:DWORD src1_sel:WORD_1
	v_fma_f16 v68, v23, v5, -v21
	v_add_u32_e32 v21, 25, v8
	v_mul_lo_u16_sdwa v23, v21, s7 dst_sel:DWORD dst_unused:UNUSED_PAD src0_sel:BYTE_0 src1_sel:DWORD
	v_lshrrev_b16_e32 v23, 11, v23
	v_mul_lo_u16_e32 v23, 10, v23
	v_sub_u16_e32 v23, v21, v23
	v_and_b32_e32 v23, 0xff, v23
	v_lshlrev_b32_e32 v30, 4, v23
	global_load_dwordx4 v[30:33], v30, s[4:5]
	s_waitcnt lgkmcnt(8)
	v_mul_f16_sdwa v84, v75, v6 dst_sel:DWORD dst_unused:UNUSED_PAD src0_sel:DWORD src1_sel:WORD_1
	v_fma_f16 v84, v67, v6, v84
	v_mul_f16_sdwa v67, v67, v6 dst_sel:DWORD dst_unused:UNUSED_PAD src0_sel:DWORD src1_sel:WORD_1
	v_fma_f16 v67, v75, v6, -v67
	v_mul_f16_sdwa v75, v72, v7 dst_sel:DWORD dst_unused:UNUSED_PAD src0_sel:DWORD src1_sel:WORD_1
	v_fma_f16 v75, v64, v7, v75
	v_mul_f16_sdwa v64, v64, v7 dst_sel:DWORD dst_unused:UNUSED_PAD src0_sel:DWORD src1_sel:WORD_1
	v_fma_f16 v64, v72, v7, -v64
	ds_read_u16 v72, v17 offset:290
	s_waitcnt lgkmcnt(1)
	v_mul_f16_sdwa v86, v85, v4 dst_sel:DWORD dst_unused:UNUSED_PAD src0_sel:DWORD src1_sel:WORD_1
	v_fma_f16 v86, v65, v4, v86
	v_mul_f16_sdwa v65, v65, v4 dst_sel:DWORD dst_unused:UNUSED_PAD src0_sel:DWORD src1_sel:WORD_1
	v_fma_f16 v4, v85, v4, -v65
	v_mul_f16_sdwa v65, v34, v5 dst_sel:DWORD dst_unused:UNUSED_PAD src0_sel:DWORD src1_sel:WORD_1
	v_fma_f16 v65, v62, v5, v65
	v_mul_f16_sdwa v62, v62, v5 dst_sel:DWORD dst_unused:UNUSED_PAD src0_sel:DWORD src1_sel:WORD_1
	v_fma_f16 v5, v34, v5, -v62
	v_mul_f16_sdwa v34, v38, v6 dst_sel:DWORD dst_unused:UNUSED_PAD src0_sel:DWORD src1_sel:WORD_1
	v_fma_f16 v34, v63, v6, v34
	v_mul_f16_sdwa v62, v63, v6 dst_sel:DWORD dst_unused:UNUSED_PAD src0_sel:DWORD src1_sel:WORD_1
	ds_read_u16 v63, v17 offset:260
	v_fma_f16 v6, v38, v6, -v62
	ds_read_u16 v38, v17 offset:270
	ds_read_u16 v62, v17 offset:280
	;; [unrolled: 1-line block ×3, first 2 shown]
	s_waitcnt lgkmcnt(3)
	v_mul_f16_sdwa v87, v63, v7 dst_sel:DWORD dst_unused:UNUSED_PAD src0_sel:DWORD src1_sel:WORD_1
	v_fma_f16 v87, v61, v7, v87
	v_mul_f16_sdwa v61, v61, v7 dst_sel:DWORD dst_unused:UNUSED_PAD src0_sel:DWORD src1_sel:WORD_1
	v_fma_f16 v7, v63, v7, -v61
	s_waitcnt vmcnt(2)
	v_mul_f16_sdwa v63, v74, v2 dst_sel:DWORD dst_unused:UNUSED_PAD src0_sel:DWORD src1_sel:WORD_1
	v_mul_f16_sdwa v61, v25, v0 dst_sel:DWORD dst_unused:UNUSED_PAD src0_sel:DWORD src1_sel:WORD_1
	v_fma_f16 v63, v60, v2, v63
	v_mul_f16_sdwa v60, v60, v2 dst_sel:DWORD dst_unused:UNUSED_PAD src0_sel:DWORD src1_sel:WORD_1
	v_fma_f16 v61, v58, v0, v61
	v_mul_f16_sdwa v58, v58, v0 dst_sel:DWORD dst_unused:UNUSED_PAD src0_sel:DWORD src1_sel:WORD_1
	v_fma_f16 v60, v74, v2, -v60
	ds_read_u16 v74, v17 offset:90
	v_fma_f16 v25, v25, v0, -v58
	v_mul_f16_sdwa v58, v70, v1 dst_sel:DWORD dst_unused:UNUSED_PAD src0_sel:DWORD src1_sel:WORD_1
	v_fma_f16 v58, v59, v1, v58
	v_mul_f16_sdwa v59, v59, v1 dst_sel:DWORD dst_unused:UNUSED_PAD src0_sel:DWORD src1_sel:WORD_1
	v_fma_f16 v59, v70, v1, -v59
	s_waitcnt lgkmcnt(1)
	v_mul_f16_sdwa v70, v85, v3 dst_sel:DWORD dst_unused:UNUSED_PAD src0_sel:DWORD src1_sel:WORD_1
	v_fma_f16 v70, v57, v3, v70
	v_mul_f16_sdwa v57, v57, v3 dst_sel:DWORD dst_unused:UNUSED_PAD src0_sel:DWORD src1_sel:WORD_1
	v_fma_f16 v57, v85, v3, -v57
	ds_read_u16 v85, v17 offset:100
	s_waitcnt lgkmcnt(1)
	v_mul_f16_sdwa v88, v74, v0 dst_sel:DWORD dst_unused:UNUSED_PAD src0_sel:DWORD src1_sel:WORD_1
	v_fma_f16 v88, v53, v0, v88
	v_mul_f16_sdwa v53, v53, v0 dst_sel:DWORD dst_unused:UNUSED_PAD src0_sel:DWORD src1_sel:WORD_1
	v_fma_f16 v53, v74, v0, -v53
	v_mul_f16_sdwa v0, v35, v1 dst_sel:DWORD dst_unused:UNUSED_PAD src0_sel:DWORD src1_sel:WORD_1
	v_fma_f16 v74, v54, v1, v0
	v_mul_f16_sdwa v0, v54, v1 dst_sel:DWORD dst_unused:UNUSED_PAD src0_sel:DWORD src1_sel:WORD_1
	v_fma_f16 v35, v35, v1, -v0
	;; [unrolled: 4-line block ×4, first 2 shown]
	s_waitcnt vmcnt(1) lgkmcnt(0)
	v_mul_f16_sdwa v0, v85, v26 dst_sel:DWORD dst_unused:UNUSED_PAD src0_sel:DWORD src1_sel:WORD_1
	v_fma_f16 v38, v48, v26, v0
	v_mul_f16_sdwa v0, v48, v26 dst_sel:DWORD dst_unused:UNUSED_PAD src0_sel:DWORD src1_sel:WORD_1
	v_fma_f16 v26, v85, v26, -v0
	v_mul_f16_sdwa v0, v37, v27 dst_sel:DWORD dst_unused:UNUSED_PAD src0_sel:DWORD src1_sel:WORD_1
	v_fma_f16 v48, v49, v27, v0
	v_mul_f16_sdwa v0, v49, v27 dst_sel:DWORD dst_unused:UNUSED_PAD src0_sel:DWORD src1_sel:WORD_1
	v_fma_f16 v27, v37, v27, -v0
	;; [unrolled: 4-line block ×4, first 2 shown]
	s_waitcnt vmcnt(0)
	v_mul_f16_sdwa v0, v71, v30 dst_sel:DWORD dst_unused:UNUSED_PAD src0_sel:DWORD src1_sel:WORD_1
	v_fma_f16 v50, v47, v30, v0
	v_mul_f16_sdwa v0, v47, v30 dst_sel:DWORD dst_unused:UNUSED_PAD src0_sel:DWORD src1_sel:WORD_1
	v_fma_f16 v30, v71, v30, -v0
	v_mul_f16_sdwa v0, v76, v31 dst_sel:DWORD dst_unused:UNUSED_PAD src0_sel:DWORD src1_sel:WORD_1
	v_fma_f16 v47, v52, v31, v0
	v_mul_f16_sdwa v0, v52, v31 dst_sel:DWORD dst_unused:UNUSED_PAD src0_sel:DWORD src1_sel:WORD_1
	v_fma_f16 v31, v76, v31, -v0
	;; [unrolled: 4-line block ×4, first 2 shown]
	v_sub_f16_e32 v0, v82, v83
	v_sub_f16_e32 v1, v75, v84
	v_add_f16_e32 v0, v0, v1
	v_add_f16_e32 v1, v83, v84
	v_fma_f16 v1, v1, -0.5, v44
	v_sub_f16_e32 v46, v66, v64
	v_fma_f16 v52, v46, s1, v1
	v_sub_f16_e32 v55, v68, v67
	v_fma_f16 v1, v46, s3, v1
	v_fma_f16 v52, v55, s0, v52
	;; [unrolled: 1-line block ×5, first 2 shown]
	v_sub_f16_e32 v0, v83, v82
	v_sub_f16_e32 v1, v84, v75
	v_add_f16_e32 v0, v0, v1
	v_add_f16_e32 v1, v82, v75
	v_fma_f16 v1, v1, -0.5, v44
	v_fma_f16 v62, v55, s3, v1
	v_fma_f16 v1, v55, s1, v1
	;; [unrolled: 1-line block ×6, first 2 shown]
	v_add_f16_e32 v0, v44, v82
	v_add_f16_e32 v0, v0, v83
	;; [unrolled: 1-line block ×4, first 2 shown]
	v_sub_f16_e32 v0, v66, v68
	v_sub_f16_e32 v1, v64, v67
	v_add_f16_e32 v1, v0, v1
	v_add_f16_e32 v0, v68, v67
	v_sub_f16_e32 v62, v82, v75
	v_fma_f16 v71, v0, -0.5, v77
	v_sub_f16_e32 v69, v83, v84
	v_fma_f16 v0, v62, s3, v71
	v_fma_f16 v71, v62, s1, v71
	v_add_f16_e32 v72, v77, v66
	v_fma_f16 v0, v69, s6, v0
	v_fma_f16 v71, v69, s0, v71
	v_add_f16_e32 v72, v72, v68
	;; [unrolled: 3-line block ×3, first 2 shown]
	v_sub_f16_e32 v66, v68, v66
	v_add_f16_e32 v68, v72, v67
	v_fma_f16 v71, v71, -0.5, v77
	v_add_f16_e32 v68, v68, v64
	v_sub_f16_e32 v64, v67, v64
	v_add_f16_e32 v64, v66, v64
	v_fma_f16 v66, v69, s1, v71
	v_fma_f16 v67, v69, s3, v71
	;; [unrolled: 1-line block ×6, first 2 shown]
	v_sub_f16_e32 v64, v61, v58
	v_sub_f16_e32 v67, v70, v63
	v_add_f16_e32 v64, v64, v67
	v_add_f16_e32 v67, v58, v63
	v_fma_f16 v67, v67, -0.5, v43
	v_sub_f16_e32 v69, v25, v57
	v_fma_f16 v71, v69, s1, v67
	v_sub_f16_e32 v72, v59, v60
	v_fma_f16 v67, v69, s3, v67
	v_fma_f16 v71, v72, s0, v71
	;; [unrolled: 1-line block ×5, first 2 shown]
	v_sub_f16_e32 v67, v58, v61
	v_sub_f16_e32 v73, v63, v70
	v_add_f16_e32 v67, v67, v73
	v_add_f16_e32 v73, v61, v70
	v_fma_f16 v73, v73, -0.5, v43
	v_fma_f16 v75, v72, s3, v73
	v_fma_f16 v72, v72, s1, v73
	v_add_f16_e32 v43, v43, v61
	v_fma_f16 v73, v69, s0, v75
	v_fma_f16 v69, v69, s6, v72
	v_add_f16_e32 v43, v43, v58
	;; [unrolled: 3-line block ×3, first 2 shown]
	v_sub_f16_e32 v58, v58, v63
	v_sub_f16_e32 v63, v25, v59
	;; [unrolled: 1-line block ×3, first 2 shown]
	v_add_f16_e32 v63, v63, v69
	v_add_f16_e32 v69, v59, v60
	v_sub_f16_e32 v61, v61, v70
	v_fma_f16 v69, v69, -0.5, v78
	v_add_f16_e32 v43, v43, v70
	v_fma_f16 v70, v61, s3, v69
	v_fma_f16 v69, v61, s1, v69
	v_add_f16_e32 v73, v78, v25
	v_fma_f16 v70, v58, s6, v70
	v_fma_f16 v69, v58, s0, v69
	;; [unrolled: 3-line block ×3, first 2 shown]
	v_add_f16_e32 v69, v25, v57
	v_sub_f16_e32 v25, v59, v25
	v_add_f16_e32 v59, v73, v60
	v_fma_f16 v69, v69, -0.5, v78
	v_add_f16_e32 v59, v59, v57
	v_sub_f16_e32 v57, v60, v57
	v_add_f16_e32 v25, v25, v57
	v_fma_f16 v57, v58, s1, v69
	v_fma_f16 v58, v58, s3, v69
	;; [unrolled: 1-line block ×6, first 2 shown]
	v_sub_f16_e32 v25, v86, v65
	v_sub_f16_e32 v60, v87, v34
	v_add_f16_e32 v25, v25, v60
	v_add_f16_e32 v60, v65, v34
	v_fma_f16 v60, v60, -0.5, v42
	v_sub_f16_e32 v61, v4, v7
	v_fma_f16 v69, v61, s1, v60
	v_sub_f16_e32 v73, v5, v6
	v_fma_f16 v60, v61, s3, v60
	v_fma_f16 v69, v73, s0, v69
	;; [unrolled: 1-line block ×5, first 2 shown]
	v_sub_f16_e32 v60, v65, v86
	v_sub_f16_e32 v75, v34, v87
	v_add_f16_e32 v60, v60, v75
	v_add_f16_e32 v75, v86, v87
	v_fma_f16 v75, v75, -0.5, v42
	v_fma_f16 v76, v73, s3, v75
	v_add_f16_e32 v42, v42, v86
	v_fma_f16 v73, v73, s1, v75
	v_fma_f16 v75, v61, s0, v76
	v_add_f16_e32 v42, v42, v65
	v_fma_f16 v61, v61, s6, v73
	v_fma_f16 v73, v60, s2, v75
	v_add_f16_e32 v42, v42, v34
	v_sub_f16_e32 v34, v65, v34
	v_sub_f16_e32 v65, v4, v5
	v_sub_f16_e32 v75, v7, v6
	v_add_f16_e32 v65, v65, v75
	v_add_f16_e32 v75, v5, v6
	v_fma_f16 v60, v60, s2, v61
	v_sub_f16_e32 v61, v86, v87
	v_fma_f16 v75, v75, -0.5, v79
	v_fma_f16 v76, v61, s3, v75
	v_fma_f16 v75, v61, s1, v75
	;; [unrolled: 1-line block ×4, first 2 shown]
	v_add_f16_e32 v77, v79, v4
	v_fma_f16 v76, v65, s2, v76
	v_fma_f16 v65, v65, s2, v75
	v_add_f16_e32 v75, v4, v7
	v_add_f16_e32 v77, v77, v5
	v_fma_f16 v75, v75, -0.5, v79
	v_sub_f16_e32 v4, v5, v4
	v_add_f16_e32 v5, v77, v6
	v_sub_f16_e32 v6, v6, v7
	v_add_f16_e32 v5, v5, v7
	v_add_f16_e32 v4, v4, v6
	v_fma_f16 v6, v34, s1, v75
	v_fma_f16 v7, v34, s3, v75
	;; [unrolled: 1-line block ×6, first 2 shown]
	v_sub_f16_e32 v6, v88, v74
	v_sub_f16_e32 v7, v39, v54
	v_add_f16_e32 v6, v6, v7
	v_add_f16_e32 v7, v74, v54
	v_fma_f16 v7, v7, -0.5, v41
	v_sub_f16_e32 v34, v53, v3
	v_fma_f16 v75, v34, s1, v7
	v_sub_f16_e32 v77, v35, v2
	v_fma_f16 v7, v34, s3, v7
	v_fma_f16 v75, v77, s0, v75
	;; [unrolled: 1-line block ×5, first 2 shown]
	v_sub_f16_e32 v7, v74, v88
	v_sub_f16_e32 v78, v54, v39
	v_add_f16_e32 v7, v7, v78
	v_add_f16_e32 v78, v88, v39
	v_fma_f16 v78, v78, -0.5, v41
	v_fma_f16 v79, v77, s3, v78
	v_fma_f16 v77, v77, s1, v78
	;; [unrolled: 1-line block ×6, first 2 shown]
	v_add_f16_e32 v34, v41, v88
	v_add_f16_e32 v34, v34, v74
	;; [unrolled: 1-line block ×3, first 2 shown]
	v_sub_f16_e32 v41, v74, v54
	v_sub_f16_e32 v54, v53, v35
	;; [unrolled: 1-line block ×3, first 2 shown]
	v_add_f16_e32 v54, v54, v74
	v_add_f16_e32 v74, v35, v2
	;; [unrolled: 1-line block ×3, first 2 shown]
	v_sub_f16_e32 v39, v88, v39
	v_fma_f16 v74, v74, -0.5, v80
	v_fma_f16 v78, v39, s3, v74
	v_fma_f16 v74, v39, s1, v74
	v_fma_f16 v78, v41, s6, v78
	v_fma_f16 v74, v41, s0, v74
	v_add_f16_e32 v79, v80, v53
	v_fma_f16 v78, v54, s2, v78
	v_fma_f16 v54, v54, s2, v74
	v_add_f16_e32 v74, v53, v3
	v_add_f16_e32 v79, v79, v35
	v_fma_f16 v74, v74, -0.5, v80
	v_sub_f16_e32 v35, v35, v53
	v_add_f16_e32 v53, v79, v2
	v_sub_f16_e32 v2, v2, v3
	v_add_f16_e32 v53, v53, v3
	v_add_f16_e32 v2, v35, v2
	v_fma_f16 v3, v41, s1, v74
	v_fma_f16 v35, v41, s3, v74
	v_fma_f16 v3, v39, s6, v3
	v_fma_f16 v35, v39, s0, v35
	v_fma_f16 v3, v2, s2, v3
	v_fma_f16 v2, v2, s2, v35
	v_sub_f16_e32 v35, v38, v48
	v_sub_f16_e32 v39, v49, v37
	v_add_f16_e32 v35, v35, v39
	v_add_f16_e32 v39, v48, v37
	v_fma_f16 v39, v39, -0.5, v40
	v_sub_f16_e32 v41, v26, v29
	v_fma_f16 v74, v41, s1, v39
	v_sub_f16_e32 v79, v27, v28
	v_fma_f16 v39, v41, s3, v39
	v_fma_f16 v74, v79, s0, v74
	;; [unrolled: 1-line block ×5, first 2 shown]
	v_sub_f16_e32 v39, v48, v38
	v_sub_f16_e32 v80, v37, v49
	v_add_f16_e32 v39, v39, v80
	v_add_f16_e32 v80, v38, v49
	v_fma_f16 v80, v80, -0.5, v40
	v_fma_f16 v82, v79, s3, v80
	v_fma_f16 v79, v79, s1, v80
	v_add_f16_e32 v40, v40, v38
	v_fma_f16 v80, v41, s0, v82
	v_fma_f16 v41, v41, s6, v79
	v_add_f16_e32 v40, v40, v48
	;; [unrolled: 3-line block ×3, first 2 shown]
	v_sub_f16_e32 v37, v48, v37
	v_sub_f16_e32 v41, v26, v27
	;; [unrolled: 1-line block ×3, first 2 shown]
	v_add_f16_e32 v41, v41, v48
	v_add_f16_e32 v48, v27, v28
	v_sub_f16_e32 v38, v38, v49
	v_fma_f16 v48, v48, -0.5, v81
	v_add_f16_e32 v40, v40, v49
	v_fma_f16 v49, v38, s3, v48
	v_fma_f16 v48, v38, s1, v48
	;; [unrolled: 1-line block ×4, first 2 shown]
	v_add_f16_e32 v48, v81, v26
	v_fma_f16 v49, v37, s6, v49
	v_add_f16_e32 v48, v48, v27
	v_fma_f16 v80, v41, s2, v49
	v_add_f16_e32 v41, v26, v29
	v_sub_f16_e32 v26, v27, v26
	v_add_f16_e32 v27, v48, v28
	v_fma_f16 v41, v41, -0.5, v81
	v_add_f16_e32 v81, v27, v29
	v_sub_f16_e32 v27, v28, v29
	v_add_f16_e32 v26, v26, v27
	v_fma_f16 v27, v37, s1, v41
	v_fma_f16 v28, v37, s3, v41
	;; [unrolled: 1-line block ×6, first 2 shown]
	v_sub_f16_e32 v26, v50, v47
	v_sub_f16_e32 v27, v45, v51
	v_add_f16_e32 v26, v26, v27
	v_add_f16_e32 v27, v47, v51
	v_fma_f16 v27, v27, -0.5, v36
	v_sub_f16_e32 v28, v30, v33
	v_fma_f16 v37, v28, s1, v27
	v_sub_f16_e32 v38, v31, v32
	v_fma_f16 v27, v28, s3, v27
	v_fma_f16 v37, v38, s0, v37
	v_fma_f16 v27, v38, s6, v27
	v_fma_f16 v37, v26, s2, v37
	v_fma_f16 v26, v26, s2, v27
	v_sub_f16_e32 v27, v47, v50
	v_sub_f16_e32 v41, v51, v45
	v_add_f16_e32 v27, v27, v41
	v_add_f16_e32 v41, v50, v45
	v_fma_f16 v41, v41, -0.5, v36
	v_fma_f16 v48, v38, s3, v41
	v_fma_f16 v38, v38, s1, v41
	;; [unrolled: 1-line block ×6, first 2 shown]
	v_add_f16_e32 v28, v36, v50
	v_add_f16_e32 v28, v28, v47
	;; [unrolled: 1-line block ×4, first 2 shown]
	v_sub_f16_e32 v36, v50, v45
	v_sub_f16_e32 v41, v47, v51
	;; [unrolled: 1-line block ×4, first 2 shown]
	v_add_f16_e32 v45, v45, v47
	v_add_f16_e32 v47, v31, v32
	v_fma_f16 v47, v47, -0.5, v24
	v_fma_f16 v48, v36, s3, v47
	v_fma_f16 v47, v36, s1, v47
	;; [unrolled: 1-line block ×6, first 2 shown]
	v_add_f16_e32 v45, v30, v33
	v_fma_f16 v45, v45, -0.5, v24
	v_add_f16_e32 v24, v24, v30
	v_add_f16_e32 v24, v24, v31
	;; [unrolled: 1-line block ×3, first 2 shown]
	v_sub_f16_e32 v30, v31, v30
	v_add_f16_e32 v85, v24, v33
	v_sub_f16_e32 v24, v32, v33
	v_add_f16_e32 v42, v42, v87
	v_add_f16_e32 v24, v30, v24
	v_fma_f16 v30, v41, s1, v45
	v_fma_f16 v31, v41, s3, v45
	s_waitcnt lgkmcnt(0)
	; wave barrier
	ds_write_b16 v17, v44
	ds_write_b16 v17, v52 offset:20
	ds_write_b16 v17, v46 offset:40
	;; [unrolled: 1-line block ×12, first 2 shown]
	v_lshl_add_u32 v52, v9, 1, v18
	v_fma_f16 v30, v36, s6, v30
	v_fma_f16 v31, v36, s0, v31
	ds_write_b16 v52, v60
	ds_write_b16 v17, v25 offset:180
	ds_write_b16 v17, v34 offset:110
	;; [unrolled: 1-line block ×6, first 2 shown]
	v_lshl_add_u32 v7, v14, 1, v18
	v_lshl_add_u32 v14, v23, 1, v18
	v_fma_f16 v86, v24, s2, v30
	v_fma_f16 v87, v24, s2, v31
	ds_write_b16 v7, v40 offset:200
	ds_write_b16 v7, v74 offset:220
	;; [unrolled: 1-line block ×10, first 2 shown]
	s_waitcnt lgkmcnt(0)
	; wave barrier
	s_waitcnt lgkmcnt(0)
	ds_read_u16 v6, v16
	ds_read_u16 v9, v17 offset:10
	ds_read_u16 v24, v17 offset:20
	;; [unrolled: 1-line block ×27, first 2 shown]
	ds_read_u16 v45, v20
	ds_read_u16 v50, v17 offset:290
	s_waitcnt lgkmcnt(0)
	; wave barrier
	s_waitcnt lgkmcnt(0)
	ds_write_b16 v17, v68
	ds_write_b16 v17, v0 offset:20
	ds_write_b16 v17, v66 offset:40
	;; [unrolled: 1-line block ×12, first 2 shown]
	ds_write_b16 v52, v4
	ds_write_b16 v17, v65 offset:180
	ds_write_b16 v17, v53 offset:110
	;; [unrolled: 1-line block ×16, first 2 shown]
	s_waitcnt lgkmcnt(0)
	; wave barrier
	s_waitcnt lgkmcnt(0)
	s_and_saveexec_b64 s[0:1], vcc
	s_cbranch_execz .LBB0_14
; %bb.13:
	v_add_u32_e32 v7, 45, v8
	v_lshlrev_b32_e32 v14, 1, v7
	v_lshl_add_u64 v[0:1], v[14:15], 2, s[4:5]
	v_lshlrev_b32_e32 v14, 1, v13
	global_load_dwordx2 v[0:1], v[0:1], off offset:160
	v_lshl_add_u64 v[2:3], v[14:15], 2, s[4:5]
	global_load_dwordx2 v[2:3], v[2:3], off offset:160
	v_add_u32_e32 v14, 0x46, v12
	v_lshl_add_u64 v[4:5], v[14:15], 2, s[4:5]
	global_load_dwordx2 v[4:5], v[4:5], off offset:160
	v_add_u32_e32 v29, 30, v8
	v_lshlrev_b32_e32 v14, 1, v29
	v_lshl_add_u64 v[52:53], v[14:15], 2, s[4:5]
	ds_read_u16 v13, v17 offset:90
	ds_read_u16 v20, v20
	ds_read_u16 v51, v17 offset:240
	ds_read_u16 v62, v17 offset:230
	;; [unrolled: 1-line block ×18, first 2 shown]
	global_load_dwordx2 v[52:53], v[52:53], off offset:160
	v_lshlrev_b32_e32 v14, 1, v21
	v_lshl_add_u64 v[54:55], v[14:15], 2, s[4:5]
	v_lshlrev_b32_e32 v14, 1, v22
	v_lshl_add_u64 v[56:57], v[14:15], 2, s[4:5]
	global_load_dwordx2 v[58:59], v[54:55], off offset:160
	global_load_dwordx2 v[60:61], v[56:57], off offset:160
	s_mov_b32 s0, 0xbaee
	s_movk_i32 s1, 0x3aee
	s_waitcnt vmcnt(5)
	v_mul_f16_sdwa v14, v49, v0 dst_sel:DWORD dst_unused:UNUSED_PAD src0_sel:DWORD src1_sel:WORD_1
	v_mul_f16_sdwa v22, v50, v1 dst_sel:DWORD dst_unused:UNUSED_PAD src0_sel:DWORD src1_sel:WORD_1
	s_waitcnt lgkmcnt(12)
	v_mul_f16_sdwa v54, v66, v0 dst_sel:DWORD dst_unused:UNUSED_PAD src0_sel:DWORD src1_sel:WORD_1
	s_waitcnt lgkmcnt(9)
	v_mul_f16_sdwa v55, v69, v1 dst_sel:DWORD dst_unused:UNUSED_PAD src0_sel:DWORD src1_sel:WORD_1
	v_fma_f16 v14, v66, v0, -v14
	v_fma_f16 v22, v69, v1, -v22
	v_fma_f16 v0, v49, v0, v54
	v_fma_f16 v1, v50, v1, v55
	s_waitcnt vmcnt(4)
	v_mul_f16_sdwa v49, v46, v2 dst_sel:DWORD dst_unused:UNUSED_PAD src0_sel:DWORD src1_sel:WORD_1
	v_mul_f16_sdwa v50, v47, v3 dst_sel:DWORD dst_unused:UNUSED_PAD src0_sel:DWORD src1_sel:WORD_1
	;; [unrolled: 1-line block ×3, first 2 shown]
	s_waitcnt lgkmcnt(8)
	v_mul_f16_sdwa v55, v70, v3 dst_sel:DWORD dst_unused:UNUSED_PAD src0_sel:DWORD src1_sel:WORD_1
	v_add_f16_e32 v56, v14, v22
	v_sub_f16_e32 v57, v0, v1
	v_add_f16_e32 v69, v0, v1
	v_add_f16_e32 v0, v48, v0
	v_fma_f16 v49, v67, v2, -v49
	v_fma_f16 v50, v70, v3, -v50
	v_fma_f16 v2, v46, v2, v54
	v_fma_f16 v3, v47, v3, v55
	v_add_f16_e32 v66, v13, v14
	v_fma_f16 v13, v56, -0.5, v13
	v_add_f16_e32 v47, v0, v1
	v_add_f16_e32 v0, v49, v50
	;; [unrolled: 1-line block ×3, first 2 shown]
	v_fma_f16 v46, v69, -0.5, v48
	v_sub_f16_e32 v1, v2, v3
	v_add_f16_e32 v48, v20, v49
	v_sub_f16_e32 v49, v49, v50
	v_add_f16_e32 v2, v45, v2
	v_fma_f16 v55, v57, s0, v13
	v_fma_f16 v56, v57, s1, v13
	v_fma_f16 v0, v0, -0.5, v20
	v_fma_f16 v13, v54, -0.5, v45
	v_sub_f16_e32 v14, v14, v22
	v_add_f16_e32 v22, v66, v22
	v_add_f16_e32 v20, v48, v50
	;; [unrolled: 1-line block ×3, first 2 shown]
	v_fma_f16 v48, v1, s0, v0
	v_fma_f16 v50, v1, s1, v0
	;; [unrolled: 1-line block ×4, first 2 shown]
	ds_read_u16 v66, v17 offset:20
	ds_read_u16 v67, v17 offset:30
	;; [unrolled: 1-line block ×6, first 2 shown]
	s_waitcnt vmcnt(3)
	v_mul_f16_sdwa v1, v43, v4 dst_sel:DWORD dst_unused:UNUSED_PAD src0_sel:DWORD src1_sel:WORD_1
	v_mul_f16_sdwa v3, v44, v5 dst_sel:DWORD dst_unused:UNUSED_PAD src0_sel:DWORD src1_sel:WORD_1
	v_fma_f16 v1, v68, v4, -v1
	s_waitcnt lgkmcnt(13)
	v_fma_f16 v3, v71, v5, -v3
	v_mul_f16_sdwa v68, v68, v4 dst_sel:DWORD dst_unused:UNUSED_PAD src0_sel:DWORD src1_sel:WORD_1
	v_fma_f16 v57, v14, s1, v46
	v_fma_f16 v46, v14, s0, v46
	v_add_f16_e32 v14, v1, v3
	v_fma_f16 v4, v43, v4, v68
	v_mul_f16_sdwa v43, v71, v5 dst_sel:DWORD dst_unused:UNUSED_PAD src0_sel:DWORD src1_sel:WORD_1
	s_waitcnt lgkmcnt(0)
	v_fma_f16 v14, v14, -0.5, v0
	v_fma_f16 v5, v44, v5, v43
	v_add_f16_e32 v0, v0, v1
	ds_read_u16 v70, v17 offset:260
	v_add_f16_e32 v68, v0, v3
	v_add_f16_e32 v0, v4, v5
	v_fma_f16 v71, v0, -0.5, v40
	v_sub_f16_e32 v3, v1, v3
	v_sub_f16_e32 v43, v4, v5
	v_fma_f16 v79, v3, s1, v71
	v_fma_f16 v71, v3, s0, v71
	v_add_f16_e32 v3, v40, v4
	v_fma_f16 v44, v43, s0, v14
	v_fma_f16 v43, v43, s1, v14
	v_add_u32_e32 v14, 30, v12
	v_add_f16_e32 v40, v3, v5
	ds_read_u16 v5, v17 offset:250
	s_waitcnt vmcnt(2)
	v_mul_f16_sdwa v3, v41, v52 dst_sel:DWORD dst_unused:UNUSED_PAD src0_sel:DWORD src1_sel:WORD_1
	v_lshl_add_u64 v[0:1], v[14:15], 2, s[4:5]
	v_fma_f16 v4, v72, v52, -v3
	v_mul_f16_sdwa v3, v42, v53 dst_sel:DWORD dst_unused:UNUSED_PAD src0_sel:DWORD src1_sel:WORD_1
	v_mul_f16_sdwa v14, v72, v52 dst_sel:DWORD dst_unused:UNUSED_PAD src0_sel:DWORD src1_sel:WORD_1
	s_waitcnt lgkmcnt(1)
	v_fma_f16 v80, v70, v53, -v3
	v_fma_f16 v41, v41, v52, v14
	v_mul_f16_sdwa v14, v70, v53 dst_sel:DWORD dst_unused:UNUSED_PAD src0_sel:DWORD src1_sel:WORD_1
	v_add_f16_e32 v3, v4, v80
	v_fma_f16 v42, v42, v53, v14
	v_fma_f16 v3, v3, -0.5, v2
	v_sub_f16_e32 v14, v41, v42
	v_fma_f16 v52, v14, s0, v3
	v_fma_f16 v53, v14, s1, v3
	v_add_f16_e32 v2, v2, v4
	v_add_u32_e32 v14, 20, v12
	v_add_f16_e32 v70, v2, v80
	v_lshl_add_u64 v[2:3], v[14:15], 2, s[4:5]
	v_add_f16_e32 v14, v41, v42
	v_fma_f16 v14, v14, -0.5, v37
	v_sub_f16_e32 v4, v4, v80
	v_fma_f16 v72, v4, s1, v14
	v_fma_f16 v80, v4, s0, v14
	v_add_f16_e32 v4, v37, v41
	v_add_f16_e32 v37, v4, v42
	s_waitcnt vmcnt(1)
	v_mul_f16_sdwa v4, v38, v58 dst_sel:DWORD dst_unused:UNUSED_PAD src0_sel:DWORD src1_sel:WORD_1
	global_load_dwordx2 v[0:1], v[0:1], off offset:160
	v_fma_f16 v41, v73, v58, -v4
	global_load_dwordx2 v[2:3], v[2:3], off offset:160
	v_mul_f16_sdwa v4, v39, v59 dst_sel:DWORD dst_unused:UNUSED_PAD src0_sel:DWORD src1_sel:WORD_1
	s_waitcnt lgkmcnt(0)
	v_fma_f16 v42, v5, v59, -v4
	v_add_f16_e32 v4, v41, v42
	v_fma_f16 v81, v4, -0.5, v13
	v_mul_f16_sdwa v4, v73, v58 dst_sel:DWORD dst_unused:UNUSED_PAD src0_sel:DWORD src1_sel:WORD_1
	v_fma_f16 v38, v38, v58, v4
	v_mul_f16_sdwa v4, v5, v59 dst_sel:DWORD dst_unused:UNUSED_PAD src0_sel:DWORD src1_sel:WORD_1
	v_fma_f16 v39, v39, v59, v4
	v_sub_f16_e32 v58, v38, v39
	v_add_f16_e32 v13, v13, v41
	v_fma_f16 v59, v58, s0, v81
	v_lshlrev_b32_e32 v14, 1, v19
	v_fma_f16 v19, v58, s1, v81
	v_add_f16_e32 v58, v13, v42
	v_add_f16_e32 v13, v38, v39
	v_lshl_add_u64 v[4:5], v[14:15], 2, s[4:5]
	global_load_dwordx2 v[4:5], v[4:5], off offset:160
	v_fma_f16 v13, v13, -0.5, v35
	v_sub_f16_e32 v14, v41, v42
	v_fma_f16 v41, v14, s1, v13
	v_fma_f16 v42, v14, s0, v13
	v_add_f16_e32 v13, v35, v38
	v_add_f16_e32 v35, v13, v39
	s_waitcnt vmcnt(3)
	v_mul_f16_sdwa v13, v36, v60 dst_sel:DWORD dst_unused:UNUSED_PAD src0_sel:DWORD src1_sel:WORD_1
	v_fma_f16 v14, v74, v60, -v13
	v_mul_f16_sdwa v13, v34, v61 dst_sel:DWORD dst_unused:UNUSED_PAD src0_sel:DWORD src1_sel:WORD_1
	v_fma_f16 v38, v51, v61, -v13
	v_add_f16_e32 v13, v14, v38
	v_fma_f16 v39, v13, -0.5, v69
	v_mul_f16_sdwa v13, v74, v60 dst_sel:DWORD dst_unused:UNUSED_PAD src0_sel:DWORD src1_sel:WORD_1
	v_fma_f16 v36, v36, v60, v13
	v_mul_f16_sdwa v13, v51, v61 dst_sel:DWORD dst_unused:UNUSED_PAD src0_sel:DWORD src1_sel:WORD_1
	v_fma_f16 v34, v34, v61, v13
	v_mov_b32_e32 v13, v15
	v_lshl_add_u64 v[12:13], v[12:13], 2, s[4:5]
	global_load_dwordx2 v[12:13], v[12:13], off offset:160
	v_add_f16_e32 v61, v36, v34
	v_sub_f16_e32 v51, v36, v34
	v_fma_f16 v61, v61, -0.5, v32
	v_add_f16_e32 v32, v32, v36
	v_fma_f16 v60, v51, s0, v39
	v_fma_f16 v39, v51, s1, v39
	v_add_f16_e32 v51, v69, v14
	v_add_f16_e32 v32, v32, v34
	v_sub_f16_e32 v14, v14, v38
	v_add_f16_e32 v51, v51, v38
	v_fma_f16 v38, v14, s1, v61
	v_fma_f16 v14, v14, s0, v61
	ds_read_u16 v16, v16
	s_waitcnt vmcnt(3)
	v_mul_f16_sdwa v34, v33, v0 dst_sel:DWORD dst_unused:UNUSED_PAD src0_sel:DWORD src1_sel:WORD_1
	v_mul_f16_sdwa v36, v31, v1 dst_sel:DWORD dst_unused:UNUSED_PAD src0_sel:DWORD src1_sel:WORD_1
	;; [unrolled: 1-line block ×3, first 2 shown]
	v_fma_f16 v34, v75, v0, -v34
	v_fma_f16 v36, v62, v1, -v36
	v_fma_f16 v0, v33, v0, v69
	v_mul_f16_sdwa v33, v62, v1 dst_sel:DWORD dst_unused:UNUSED_PAD src0_sel:DWORD src1_sel:WORD_1
	v_add_f16_e32 v61, v34, v36
	v_fma_f16 v1, v31, v1, v33
	v_fma_f16 v61, v61, -0.5, v67
	v_sub_f16_e32 v31, v0, v1
	v_add_f16_e32 v62, v0, v1
	v_add_f16_e32 v0, v28, v0
	v_fma_f16 v33, v31, s0, v61
	v_fma_f16 v31, v31, s1, v61
	v_add_f16_e32 v61, v67, v34
	v_fma_f16 v62, v62, -0.5, v28
	v_add_f16_e32 v28, v0, v1
	s_waitcnt vmcnt(2)
	v_mul_f16_sdwa v0, v30, v2 dst_sel:DWORD dst_unused:UNUSED_PAD src0_sel:DWORD src1_sel:WORD_1
	v_mul_f16_sdwa v1, v27, v3 dst_sel:DWORD dst_unused:UNUSED_PAD src0_sel:DWORD src1_sel:WORD_1
	;; [unrolled: 1-line block ×3, first 2 shown]
	v_sub_f16_e32 v34, v34, v36
	v_fma_f16 v0, v76, v2, -v0
	v_fma_f16 v1, v63, v3, -v1
	v_fma_f16 v2, v30, v2, v67
	v_mul_f16_sdwa v30, v63, v3 dst_sel:DWORD dst_unused:UNUSED_PAD src0_sel:DWORD src1_sel:WORD_1
	v_add_f16_e32 v61, v61, v36
	v_fma_f16 v36, v34, s1, v62
	v_fma_f16 v34, v34, s0, v62
	v_add_f16_e32 v62, v0, v1
	v_fma_f16 v3, v27, v3, v30
	v_fma_f16 v62, v62, -0.5, v66
	v_sub_f16_e32 v27, v2, v3
	v_fma_f16 v30, v27, s0, v62
	v_fma_f16 v27, v27, s1, v62
	v_add_f16_e32 v62, v66, v0
	v_add_f16_e32 v63, v2, v3
	;; [unrolled: 1-line block ×3, first 2 shown]
	v_fma_f16 v63, v63, -0.5, v24
	v_sub_f16_e32 v0, v0, v1
	ds_read_u16 v1, v17 offset:10
	v_fma_f16 v66, v0, s1, v63
	v_fma_f16 v63, v0, s0, v63
	v_add_f16_e32 v0, v24, v2
	v_add_f16_e32 v2, v0, v3
	s_waitcnt vmcnt(1)
	v_mul_f16_sdwa v0, v25, v4 dst_sel:DWORD dst_unused:UNUSED_PAD src0_sel:DWORD src1_sel:WORD_1
	v_mul_f16_sdwa v3, v26, v5 dst_sel:DWORD dst_unused:UNUSED_PAD src0_sel:DWORD src1_sel:WORD_1
	;; [unrolled: 1-line block ×3, first 2 shown]
	v_fma_f16 v0, v77, v4, -v0
	v_fma_f16 v3, v64, v5, -v3
	v_fma_f16 v4, v25, v4, v24
	v_mul_f16_sdwa v24, v64, v5 dst_sel:DWORD dst_unused:UNUSED_PAD src0_sel:DWORD src1_sel:WORD_1
	v_add_f16_e32 v17, v0, v3
	v_fma_f16 v5, v26, v5, v24
	s_waitcnt lgkmcnt(0)
	v_fma_f16 v17, v17, -0.5, v1
	v_sub_f16_e32 v24, v4, v5
	v_add_f16_e32 v1, v1, v0
	v_fma_f16 v25, v24, s0, v17
	v_fma_f16 v17, v24, s1, v17
	v_add_f16_e32 v24, v1, v3
	v_add_f16_e32 v1, v4, v5
	v_fma_f16 v1, v1, -0.5, v9
	v_sub_f16_e32 v0, v0, v3
	v_fma_f16 v3, v0, s1, v1
	v_fma_f16 v26, v0, s0, v1
	v_add_f16_e32 v0, v9, v4
	v_add_f16_e32 v4, v0, v5
	s_waitcnt vmcnt(0)
	v_mul_f16_sdwa v0, v18, v12 dst_sel:DWORD dst_unused:UNUSED_PAD src0_sel:DWORD src1_sel:WORD_1
	v_mul_f16_sdwa v1, v23, v13 dst_sel:DWORD dst_unused:UNUSED_PAD src0_sel:DWORD src1_sel:WORD_1
	;; [unrolled: 1-line block ×3, first 2 shown]
	v_fma_f16 v0, v78, v12, -v0
	v_fma_f16 v1, v65, v13, -v1
	v_fma_f16 v9, v18, v12, v9
	v_mul_f16_sdwa v12, v65, v13 dst_sel:DWORD dst_unused:UNUSED_PAD src0_sel:DWORD src1_sel:WORD_1
	v_add_f16_e32 v5, v0, v1
	v_fma_f16 v12, v23, v13, v12
	v_fma_f16 v5, v5, -0.5, v16
	v_sub_f16_e32 v13, v9, v12
	v_fma_f16 v18, v13, s0, v5
	v_fma_f16 v5, v13, s1, v5
	v_add_f16_e32 v13, v16, v0
	v_add_f16_e32 v16, v9, v12
	v_fma_f16 v16, v16, -0.5, v6
	v_sub_f16_e32 v0, v0, v1
	v_fma_f16 v23, v0, s1, v16
	v_fma_f16 v16, v0, s0, v16
	v_add_f16_e32 v0, v6, v9
	v_mov_b32_e32 v9, v15
	v_add_f16_e32 v13, v13, v1
	v_add_f16_e32 v6, v0, v12
	v_lshl_add_u64 v[0:1], v[8:9], 2, v[10:11]
	v_pack_b32_f16 v2, v2, v62
	global_store_dword v[0:1], v2, off offset:40
	v_pack_b32_f16 v2, v63, v27
	global_store_dword v[0:1], v2, off offset:240
	;; [unrolled: 2-line block ×8, first 2 shown]
	v_pack_b32_f16 v2, v38, v60
	s_mov_b32 s0, 0x51eb851f
	global_store_dword v[0:1], v2, off offset:480
	v_mul_hi_u32 v2, v21, s0
	v_pack_b32_f16 v4, v4, v24
	v_lshrrev_b32_e32 v2, 4, v2
	v_pack_b32_f16 v5, v16, v5
	global_store_dword v[0:1], v4, off offset:20
	v_pack_b32_f16 v4, v26, v17
	v_pack_b32_f16 v3, v3, v25
	v_mul_u32_u24_e32 v14, 0x64, v2
	global_store_dword v[0:1], v5, off offset:200
	v_pack_b32_f16 v5, v23, v18
	global_store_dword v[0:1], v4, off offset:220
	global_store_dword v[0:1], v3, off offset:420
	v_lshl_add_u64 v[2:3], v[14:15], 2, v[0:1]
	v_pack_b32_f16 v4, v35, v58
	global_store_dword v[0:1], v5, off offset:400
	global_store_dword v[2:3], v4, off offset:100
	v_pack_b32_f16 v4, v42, v19
	global_store_dword v[2:3], v4, off offset:300
	v_pack_b32_f16 v4, v41, v59
	global_store_dword v[2:3], v4, off offset:500
	v_mul_hi_u32 v2, v29, s0
	v_lshrrev_b32_e32 v2, 4, v2
	v_mul_u32_u24_e32 v14, 0x64, v2
	v_lshl_add_u64 v[2:3], v[14:15], 2, v[0:1]
	v_pack_b32_f16 v4, v37, v70
	global_store_dword v[2:3], v4, off offset:120
	v_pack_b32_f16 v4, v80, v53
	global_store_dword v[2:3], v4, off offset:320
	;; [unrolled: 2-line block ×9, first 2 shown]
	v_mul_hi_u32 v2, v7, s0
	v_lshrrev_b32_e32 v2, 4, v2
	v_pack_b32_f16 v6, v6, v13
	v_mul_u32_u24_e32 v14, 0x64, v2
	global_store_dword v[0:1], v6, off
	v_lshl_add_u64 v[0:1], v[14:15], 2, v[0:1]
	v_pack_b32_f16 v2, v47, v22
	global_store_dword v[0:1], v2, off offset:180
	v_pack_b32_f16 v2, v46, v56
	global_store_dword v[0:1], v2, off offset:380
	;; [unrolled: 2-line block ×3, first 2 shown]
.LBB0_14:
	s_endpgm
	.section	.rodata,"a",@progbits
	.p2align	6, 0x0
	.amdhsa_kernel fft_rtc_back_len150_factors_10_5_3_wgs_60_tpt_5_halfLds_half_ip_CI_unitstride_sbrr_dirReg
		.amdhsa_group_segment_fixed_size 0
		.amdhsa_private_segment_fixed_size 0
		.amdhsa_kernarg_size 88
		.amdhsa_user_sgpr_count 2
		.amdhsa_user_sgpr_dispatch_ptr 0
		.amdhsa_user_sgpr_queue_ptr 0
		.amdhsa_user_sgpr_kernarg_segment_ptr 1
		.amdhsa_user_sgpr_dispatch_id 0
		.amdhsa_user_sgpr_kernarg_preload_length 0
		.amdhsa_user_sgpr_kernarg_preload_offset 0
		.amdhsa_user_sgpr_private_segment_size 0
		.amdhsa_uses_dynamic_stack 0
		.amdhsa_enable_private_segment 0
		.amdhsa_system_sgpr_workgroup_id_x 1
		.amdhsa_system_sgpr_workgroup_id_y 0
		.amdhsa_system_sgpr_workgroup_id_z 0
		.amdhsa_system_sgpr_workgroup_info 0
		.amdhsa_system_vgpr_workitem_id 0
		.amdhsa_next_free_vgpr 101
		.amdhsa_next_free_sgpr 22
		.amdhsa_accum_offset 104
		.amdhsa_reserve_vcc 1
		.amdhsa_float_round_mode_32 0
		.amdhsa_float_round_mode_16_64 0
		.amdhsa_float_denorm_mode_32 3
		.amdhsa_float_denorm_mode_16_64 3
		.amdhsa_dx10_clamp 1
		.amdhsa_ieee_mode 1
		.amdhsa_fp16_overflow 0
		.amdhsa_tg_split 0
		.amdhsa_exception_fp_ieee_invalid_op 0
		.amdhsa_exception_fp_denorm_src 0
		.amdhsa_exception_fp_ieee_div_zero 0
		.amdhsa_exception_fp_ieee_overflow 0
		.amdhsa_exception_fp_ieee_underflow 0
		.amdhsa_exception_fp_ieee_inexact 0
		.amdhsa_exception_int_div_zero 0
	.end_amdhsa_kernel
	.text
.Lfunc_end0:
	.size	fft_rtc_back_len150_factors_10_5_3_wgs_60_tpt_5_halfLds_half_ip_CI_unitstride_sbrr_dirReg, .Lfunc_end0-fft_rtc_back_len150_factors_10_5_3_wgs_60_tpt_5_halfLds_half_ip_CI_unitstride_sbrr_dirReg
                                        ; -- End function
	.section	.AMDGPU.csdata,"",@progbits
; Kernel info:
; codeLenInByte = 11692
; NumSgprs: 28
; NumVgprs: 101
; NumAgprs: 0
; TotalNumVgprs: 101
; ScratchSize: 0
; MemoryBound: 0
; FloatMode: 240
; IeeeMode: 1
; LDSByteSize: 0 bytes/workgroup (compile time only)
; SGPRBlocks: 3
; VGPRBlocks: 12
; NumSGPRsForWavesPerEU: 28
; NumVGPRsForWavesPerEU: 101
; AccumOffset: 104
; Occupancy: 4
; WaveLimiterHint : 1
; COMPUTE_PGM_RSRC2:SCRATCH_EN: 0
; COMPUTE_PGM_RSRC2:USER_SGPR: 2
; COMPUTE_PGM_RSRC2:TRAP_HANDLER: 0
; COMPUTE_PGM_RSRC2:TGID_X_EN: 1
; COMPUTE_PGM_RSRC2:TGID_Y_EN: 0
; COMPUTE_PGM_RSRC2:TGID_Z_EN: 0
; COMPUTE_PGM_RSRC2:TIDIG_COMP_CNT: 0
; COMPUTE_PGM_RSRC3_GFX90A:ACCUM_OFFSET: 25
; COMPUTE_PGM_RSRC3_GFX90A:TG_SPLIT: 0
	.text
	.p2alignl 6, 3212836864
	.fill 256, 4, 3212836864
	.type	__hip_cuid_d900302a8ad24adb,@object ; @__hip_cuid_d900302a8ad24adb
	.section	.bss,"aw",@nobits
	.globl	__hip_cuid_d900302a8ad24adb
__hip_cuid_d900302a8ad24adb:
	.byte	0                               ; 0x0
	.size	__hip_cuid_d900302a8ad24adb, 1

	.ident	"AMD clang version 19.0.0git (https://github.com/RadeonOpenCompute/llvm-project roc-6.4.0 25133 c7fe45cf4b819c5991fe208aaa96edf142730f1d)"
	.section	".note.GNU-stack","",@progbits
	.addrsig
	.addrsig_sym __hip_cuid_d900302a8ad24adb
	.amdgpu_metadata
---
amdhsa.kernels:
  - .agpr_count:     0
    .args:
      - .actual_access:  read_only
        .address_space:  global
        .offset:         0
        .size:           8
        .value_kind:     global_buffer
      - .offset:         8
        .size:           8
        .value_kind:     by_value
      - .actual_access:  read_only
        .address_space:  global
        .offset:         16
        .size:           8
        .value_kind:     global_buffer
      - .actual_access:  read_only
        .address_space:  global
        .offset:         24
        .size:           8
        .value_kind:     global_buffer
      - .offset:         32
        .size:           8
        .value_kind:     by_value
      - .actual_access:  read_only
        .address_space:  global
        .offset:         40
        .size:           8
        .value_kind:     global_buffer
      - .actual_access:  read_only
        .address_space:  global
        .offset:         48
        .size:           8
        .value_kind:     global_buffer
      - .offset:         56
        .size:           4
        .value_kind:     by_value
      - .actual_access:  read_only
        .address_space:  global
        .offset:         64
        .size:           8
        .value_kind:     global_buffer
      - .actual_access:  read_only
        .address_space:  global
        .offset:         72
        .size:           8
        .value_kind:     global_buffer
      - .address_space:  global
        .offset:         80
        .size:           8
        .value_kind:     global_buffer
    .group_segment_fixed_size: 0
    .kernarg_segment_align: 8
    .kernarg_segment_size: 88
    .language:       OpenCL C
    .language_version:
      - 2
      - 0
    .max_flat_workgroup_size: 60
    .name:           fft_rtc_back_len150_factors_10_5_3_wgs_60_tpt_5_halfLds_half_ip_CI_unitstride_sbrr_dirReg
    .private_segment_fixed_size: 0
    .sgpr_count:     28
    .sgpr_spill_count: 0
    .symbol:         fft_rtc_back_len150_factors_10_5_3_wgs_60_tpt_5_halfLds_half_ip_CI_unitstride_sbrr_dirReg.kd
    .uniform_work_group_size: 1
    .uses_dynamic_stack: false
    .vgpr_count:     101
    .vgpr_spill_count: 0
    .wavefront_size: 64
amdhsa.target:   amdgcn-amd-amdhsa--gfx950
amdhsa.version:
  - 1
  - 2
...

	.end_amdgpu_metadata
